;; amdgpu-corpus repo=ROCm/rocFFT kind=compiled arch=gfx906 opt=O3
	.text
	.amdgcn_target "amdgcn-amd-amdhsa--gfx906"
	.amdhsa_code_object_version 6
	.protected	fft_rtc_back_len1323_factors_3_3_3_7_7_wgs_189_tpt_189_half_op_CI_CI_sbrr_dirReg ; -- Begin function fft_rtc_back_len1323_factors_3_3_3_7_7_wgs_189_tpt_189_half_op_CI_CI_sbrr_dirReg
	.globl	fft_rtc_back_len1323_factors_3_3_3_7_7_wgs_189_tpt_189_half_op_CI_CI_sbrr_dirReg
	.p2align	8
	.type	fft_rtc_back_len1323_factors_3_3_3_7_7_wgs_189_tpt_189_half_op_CI_CI_sbrr_dirReg,@function
fft_rtc_back_len1323_factors_3_3_3_7_7_wgs_189_tpt_189_half_op_CI_CI_sbrr_dirReg: ; @fft_rtc_back_len1323_factors_3_3_3_7_7_wgs_189_tpt_189_half_op_CI_CI_sbrr_dirReg
; %bb.0:
	s_load_dwordx4 s[16:19], s[4:5], 0x18
	s_load_dwordx4 s[12:15], s[4:5], 0x0
	;; [unrolled: 1-line block ×3, first 2 shown]
	v_mul_u32_u24_e32 v1, 0x15b, v0
	v_mov_b32_e32 v7, 0
	s_waitcnt lgkmcnt(0)
	s_load_dwordx2 s[20:21], s[16:17], 0x0
	s_load_dwordx2 s[2:3], s[18:19], 0x0
	v_cmp_lt_u64_e64 s[0:1], s[14:15], 2
	v_mov_b32_e32 v5, 0
	v_add_u32_sdwa v9, s6, v1 dst_sel:DWORD dst_unused:UNUSED_PAD src0_sel:DWORD src1_sel:WORD_1
	v_mov_b32_e32 v10, v7
	s_and_b64 vcc, exec, s[0:1]
	v_mov_b32_e32 v6, 0
	s_cbranch_vccnz .LBB0_8
; %bb.1:
	s_load_dwordx2 s[0:1], s[4:5], 0x10
	s_add_u32 s6, s18, 8
	s_addc_u32 s7, s19, 0
	s_add_u32 s22, s16, 8
	s_addc_u32 s23, s17, 0
	v_mov_b32_e32 v5, 0
	s_waitcnt lgkmcnt(0)
	s_add_u32 s24, s0, 8
	v_mov_b32_e32 v6, 0
	v_mov_b32_e32 v1, v5
	s_addc_u32 s25, s1, 0
	s_mov_b64 s[26:27], 1
	v_mov_b32_e32 v2, v6
.LBB0_2:                                ; =>This Inner Loop Header: Depth=1
	s_load_dwordx2 s[28:29], s[24:25], 0x0
                                        ; implicit-def: $vgpr3_vgpr4
	s_waitcnt lgkmcnt(0)
	v_or_b32_e32 v8, s29, v10
	v_cmp_ne_u64_e32 vcc, 0, v[7:8]
	s_and_saveexec_b64 s[0:1], vcc
	s_xor_b64 s[30:31], exec, s[0:1]
	s_cbranch_execz .LBB0_4
; %bb.3:                                ;   in Loop: Header=BB0_2 Depth=1
	v_cvt_f32_u32_e32 v3, s28
	v_cvt_f32_u32_e32 v4, s29
	s_sub_u32 s0, 0, s28
	s_subb_u32 s1, 0, s29
	v_mac_f32_e32 v3, 0x4f800000, v4
	v_rcp_f32_e32 v3, v3
	v_mul_f32_e32 v3, 0x5f7ffffc, v3
	v_mul_f32_e32 v4, 0x2f800000, v3
	v_trunc_f32_e32 v4, v4
	v_mac_f32_e32 v3, 0xcf800000, v4
	v_cvt_u32_f32_e32 v4, v4
	v_cvt_u32_f32_e32 v3, v3
	v_mul_lo_u32 v8, s0, v4
	v_mul_hi_u32 v11, s0, v3
	v_mul_lo_u32 v13, s1, v3
	v_mul_lo_u32 v12, s0, v3
	v_add_u32_e32 v8, v11, v8
	v_add_u32_e32 v8, v8, v13
	v_mul_hi_u32 v11, v3, v12
	v_mul_lo_u32 v13, v3, v8
	v_mul_hi_u32 v15, v3, v8
	v_mul_hi_u32 v14, v4, v12
	v_mul_lo_u32 v12, v4, v12
	v_mul_hi_u32 v16, v4, v8
	v_add_co_u32_e32 v11, vcc, v11, v13
	v_addc_co_u32_e32 v13, vcc, 0, v15, vcc
	v_mul_lo_u32 v8, v4, v8
	v_add_co_u32_e32 v11, vcc, v11, v12
	v_addc_co_u32_e32 v11, vcc, v13, v14, vcc
	v_addc_co_u32_e32 v12, vcc, 0, v16, vcc
	v_add_co_u32_e32 v8, vcc, v11, v8
	v_addc_co_u32_e32 v11, vcc, 0, v12, vcc
	v_add_co_u32_e32 v3, vcc, v3, v8
	v_addc_co_u32_e32 v4, vcc, v4, v11, vcc
	v_mul_lo_u32 v8, s0, v4
	v_mul_hi_u32 v11, s0, v3
	v_mul_lo_u32 v12, s1, v3
	v_mul_lo_u32 v13, s0, v3
	v_add_u32_e32 v8, v11, v8
	v_add_u32_e32 v8, v8, v12
	v_mul_lo_u32 v14, v3, v8
	v_mul_hi_u32 v15, v3, v13
	v_mul_hi_u32 v16, v3, v8
	;; [unrolled: 1-line block ×3, first 2 shown]
	v_mul_lo_u32 v13, v4, v13
	v_mul_hi_u32 v11, v4, v8
	v_add_co_u32_e32 v14, vcc, v15, v14
	v_addc_co_u32_e32 v15, vcc, 0, v16, vcc
	v_mul_lo_u32 v8, v4, v8
	v_add_co_u32_e32 v13, vcc, v14, v13
	v_addc_co_u32_e32 v12, vcc, v15, v12, vcc
	v_addc_co_u32_e32 v11, vcc, 0, v11, vcc
	v_add_co_u32_e32 v8, vcc, v12, v8
	v_addc_co_u32_e32 v11, vcc, 0, v11, vcc
	v_add_co_u32_e32 v8, vcc, v3, v8
	v_addc_co_u32_e32 v11, vcc, v4, v11, vcc
	v_mad_u64_u32 v[3:4], s[0:1], v9, v11, 0
	v_mul_hi_u32 v12, v9, v8
	v_add_co_u32_e32 v13, vcc, v12, v3
	v_addc_co_u32_e32 v14, vcc, 0, v4, vcc
	v_mad_u64_u32 v[3:4], s[0:1], v10, v8, 0
	v_mad_u64_u32 v[11:12], s[0:1], v10, v11, 0
	v_add_co_u32_e32 v3, vcc, v13, v3
	v_addc_co_u32_e32 v3, vcc, v14, v4, vcc
	v_addc_co_u32_e32 v4, vcc, 0, v12, vcc
	v_add_co_u32_e32 v8, vcc, v3, v11
	v_addc_co_u32_e32 v11, vcc, 0, v4, vcc
	v_mul_lo_u32 v12, s29, v8
	v_mul_lo_u32 v13, s28, v11
	v_mad_u64_u32 v[3:4], s[0:1], s28, v8, 0
	v_add3_u32 v4, v4, v13, v12
	v_sub_u32_e32 v12, v10, v4
	v_mov_b32_e32 v13, s29
	v_sub_co_u32_e32 v3, vcc, v9, v3
	v_subb_co_u32_e64 v12, s[0:1], v12, v13, vcc
	v_subrev_co_u32_e64 v13, s[0:1], s28, v3
	v_subbrev_co_u32_e64 v12, s[0:1], 0, v12, s[0:1]
	v_cmp_le_u32_e64 s[0:1], s29, v12
	v_cndmask_b32_e64 v14, 0, -1, s[0:1]
	v_cmp_le_u32_e64 s[0:1], s28, v13
	v_cndmask_b32_e64 v13, 0, -1, s[0:1]
	v_cmp_eq_u32_e64 s[0:1], s29, v12
	v_cndmask_b32_e64 v12, v14, v13, s[0:1]
	v_add_co_u32_e64 v13, s[0:1], 2, v8
	v_addc_co_u32_e64 v14, s[0:1], 0, v11, s[0:1]
	v_add_co_u32_e64 v15, s[0:1], 1, v8
	v_addc_co_u32_e64 v16, s[0:1], 0, v11, s[0:1]
	v_subb_co_u32_e32 v4, vcc, v10, v4, vcc
	v_cmp_ne_u32_e64 s[0:1], 0, v12
	v_cmp_le_u32_e32 vcc, s29, v4
	v_cndmask_b32_e64 v12, v16, v14, s[0:1]
	v_cndmask_b32_e64 v14, 0, -1, vcc
	v_cmp_le_u32_e32 vcc, s28, v3
	v_cndmask_b32_e64 v3, 0, -1, vcc
	v_cmp_eq_u32_e32 vcc, s29, v4
	v_cndmask_b32_e32 v3, v14, v3, vcc
	v_cmp_ne_u32_e32 vcc, 0, v3
	v_cndmask_b32_e64 v3, v15, v13, s[0:1]
	v_cndmask_b32_e32 v4, v11, v12, vcc
	v_cndmask_b32_e32 v3, v8, v3, vcc
.LBB0_4:                                ;   in Loop: Header=BB0_2 Depth=1
	s_andn2_saveexec_b64 s[0:1], s[30:31]
	s_cbranch_execz .LBB0_6
; %bb.5:                                ;   in Loop: Header=BB0_2 Depth=1
	v_cvt_f32_u32_e32 v3, s28
	s_sub_i32 s30, 0, s28
	v_rcp_iflag_f32_e32 v3, v3
	v_mul_f32_e32 v3, 0x4f7ffffe, v3
	v_cvt_u32_f32_e32 v3, v3
	v_mul_lo_u32 v4, s30, v3
	v_mul_hi_u32 v4, v3, v4
	v_add_u32_e32 v3, v3, v4
	v_mul_hi_u32 v3, v9, v3
	v_mul_lo_u32 v4, v3, s28
	v_add_u32_e32 v8, 1, v3
	v_sub_u32_e32 v4, v9, v4
	v_subrev_u32_e32 v11, s28, v4
	v_cmp_le_u32_e32 vcc, s28, v4
	v_cndmask_b32_e32 v4, v4, v11, vcc
	v_cndmask_b32_e32 v3, v3, v8, vcc
	v_add_u32_e32 v8, 1, v3
	v_cmp_le_u32_e32 vcc, s28, v4
	v_cndmask_b32_e32 v3, v3, v8, vcc
	v_mov_b32_e32 v4, v7
.LBB0_6:                                ;   in Loop: Header=BB0_2 Depth=1
	s_or_b64 exec, exec, s[0:1]
	v_mul_lo_u32 v8, v4, s28
	v_mul_lo_u32 v13, v3, s29
	v_mad_u64_u32 v[11:12], s[0:1], v3, s28, 0
	s_load_dwordx2 s[0:1], s[22:23], 0x0
	s_load_dwordx2 s[28:29], s[6:7], 0x0
	v_add3_u32 v8, v12, v13, v8
	v_sub_co_u32_e32 v9, vcc, v9, v11
	v_subb_co_u32_e32 v8, vcc, v10, v8, vcc
	s_waitcnt lgkmcnt(0)
	v_mul_lo_u32 v10, s0, v8
	v_mul_lo_u32 v11, s1, v9
	v_mad_u64_u32 v[5:6], s[0:1], s0, v9, v[5:6]
	v_mul_lo_u32 v8, s28, v8
	v_mul_lo_u32 v12, s29, v9
	v_mad_u64_u32 v[1:2], s[0:1], s28, v9, v[1:2]
	s_add_u32 s26, s26, 1
	s_addc_u32 s27, s27, 0
	s_add_u32 s6, s6, 8
	v_add3_u32 v2, v12, v2, v8
	s_addc_u32 s7, s7, 0
	v_mov_b32_e32 v8, s14
	s_add_u32 s22, s22, 8
	v_mov_b32_e32 v9, s15
	s_addc_u32 s23, s23, 0
	v_cmp_ge_u64_e32 vcc, s[26:27], v[8:9]
	s_add_u32 s24, s24, 8
	v_add3_u32 v6, v11, v6, v10
	s_addc_u32 s25, s25, 0
	s_cbranch_vccnz .LBB0_9
; %bb.7:                                ;   in Loop: Header=BB0_2 Depth=1
	v_mov_b32_e32 v10, v4
	v_mov_b32_e32 v9, v3
	s_branch .LBB0_2
.LBB0_8:
	v_mov_b32_e32 v1, v5
	v_mov_b32_e32 v3, v9
	;; [unrolled: 1-line block ×4, first 2 shown]
.LBB0_9:
	s_load_dwordx2 s[0:1], s[4:5], 0x28
	s_lshl_b64 s[14:15], s[14:15], 3
	s_add_u32 s4, s18, s14
	s_addc_u32 s5, s19, s15
                                        ; implicit-def: $sgpr18
                                        ; implicit-def: $vgpr10
                                        ; implicit-def: $vgpr11
	s_waitcnt lgkmcnt(0)
	v_cmp_gt_u64_e32 vcc, s[0:1], v[3:4]
	v_cmp_le_u64_e64 s[0:1], s[0:1], v[3:4]
	s_and_saveexec_b64 s[6:7], s[0:1]
	s_xor_b64 s[0:1], exec, s[6:7]
; %bb.10:
	s_mov_b32 s6, 0x15ac057
	v_mul_hi_u32 v5, v0, s6
	s_mov_b32 s18, 0
	v_mul_u32_u24_e32 v5, 0xbd, v5
	v_sub_u32_e32 v10, v0, v5
	v_add_u32_e32 v11, 0xbd, v10
                                        ; implicit-def: $vgpr0
                                        ; implicit-def: $vgpr5_vgpr6
; %bb.11:
	s_or_saveexec_b64 s[6:7], s[0:1]
	s_load_dwordx2 s[4:5], s[4:5], 0x0
	v_mov_b32_e32 v9, s18
                                        ; implicit-def: $vgpr17
                                        ; implicit-def: $vgpr15
                                        ; implicit-def: $vgpr16
                                        ; implicit-def: $vgpr7
                                        ; implicit-def: $vgpr8
                                        ; implicit-def: $vgpr14
                                        ; implicit-def: $vgpr12
                                        ; implicit-def: $vgpr18
                                        ; implicit-def: $vgpr19
	s_xor_b64 exec, exec, s[6:7]
	s_cbranch_execz .LBB0_15
; %bb.12:
	s_add_u32 s0, s16, s14
	s_addc_u32 s1, s17, s15
	s_mov_b32 s14, 0x15ac057
	v_mul_hi_u32 v7, v0, s14
	s_load_dwordx2 s[0:1], s[0:1], 0x0
	v_lshlrev_b64 v[5:6], 2, v[5:6]
	v_mul_u32_u24_e32 v7, 0xbd, v7
	v_sub_u32_e32 v10, v0, v7
	s_waitcnt lgkmcnt(0)
	v_mul_lo_u32 v13, s1, v3
	v_mul_lo_u32 v14, s0, v4
	v_mad_u64_u32 v[11:12], s[0:1], s0, v3, 0
	v_mad_u64_u32 v[7:8], s[14:15], s20, v10, 0
	v_add3_u32 v12, v12, v14, v13
	v_lshlrev_b64 v[11:12], 2, v[11:12]
	v_mov_b32_e32 v0, v8
	v_mad_u64_u32 v[8:9], s[0:1], s21, v10, v[0:1]
	v_mov_b32_e32 v0, s9
	v_add_co_u32_e64 v9, s[0:1], s8, v11
	v_add_u32_e32 v14, 0x1b9, v10
	v_addc_co_u32_e64 v13, s[0:1], v0, v12, s[0:1]
	v_mad_u64_u32 v[11:12], s[0:1], s20, v14, 0
	v_add_co_u32_e64 v0, s[0:1], v9, v5
	v_addc_co_u32_e64 v5, s[0:1], v13, v6, s[0:1]
	v_lshlrev_b64 v[6:7], 2, v[7:8]
	v_mov_b32_e32 v8, v12
	v_mad_u64_u32 v[8:9], s[0:1], s21, v14, v[8:9]
	v_add_u32_e32 v9, 0x372, v10
	v_mad_u64_u32 v[13:14], s[0:1], s20, v9, 0
	v_add_co_u32_e64 v15, s[0:1], v0, v6
	v_mov_b32_e32 v12, v8
	v_addc_co_u32_e64 v16, s[0:1], v5, v7, s[0:1]
	v_lshlrev_b64 v[6:7], 2, v[11:12]
	v_mov_b32_e32 v8, v14
	v_add_u32_e32 v11, 0xbd, v10
	v_mad_u64_u32 v[8:9], s[0:1], s21, v9, v[8:9]
	v_mad_u64_u32 v[17:18], s[0:1], s20, v11, 0
	v_add_co_u32_e64 v20, s[0:1], v0, v6
	v_mov_b32_e32 v14, v8
	v_mov_b32_e32 v8, v18
	v_addc_co_u32_e64 v21, s[0:1], v5, v7, s[0:1]
	v_mad_u64_u32 v[8:9], s[0:1], s21, v11, v[8:9]
	v_add_u32_e32 v9, 0x276, v10
	v_lshlrev_b64 v[6:7], 2, v[13:14]
	v_mad_u64_u32 v[12:13], s[0:1], s20, v9, 0
	v_add_co_u32_e64 v22, s[0:1], v0, v6
	v_mov_b32_e32 v18, v8
	v_mov_b32_e32 v8, v13
	v_addc_co_u32_e64 v23, s[0:1], v5, v7, s[0:1]
	v_mad_u64_u32 v[8:9], s[0:1], s21, v9, v[8:9]
	v_add_u32_e32 v9, 0x42f, v10
	v_lshlrev_b64 v[6:7], 2, v[17:18]
	v_mad_u64_u32 v[17:18], s[0:1], s20, v9, 0
	v_add_co_u32_e64 v24, s[0:1], v0, v6
	v_mov_b32_e32 v13, v8
	v_mov_b32_e32 v8, v18
	v_addc_co_u32_e64 v25, s[0:1], v5, v7, s[0:1]
	v_mad_u64_u32 v[8:9], s[0:1], s21, v9, v[8:9]
	v_lshlrev_b64 v[6:7], 2, v[12:13]
	v_add_co_u32_e64 v26, s[0:1], v0, v6
	v_mov_b32_e32 v18, v8
	v_addc_co_u32_e64 v27, s[0:1], v5, v7, s[0:1]
	v_lshlrev_b64 v[6:7], 2, v[17:18]
                                        ; implicit-def: $vgpr17
	v_add_co_u32_e64 v28, s[0:1], v0, v6
	v_addc_co_u32_e64 v29, s[0:1], v5, v7, s[0:1]
	global_load_dword v12, v[15:16], off
	global_load_dword v18, v[20:21], off
	;; [unrolled: 1-line block ×6, first 2 shown]
	v_cmp_gt_u32_e64 s[0:1], 63, v10
                                        ; implicit-def: $vgpr16
                                        ; implicit-def: $vgpr15
	s_and_saveexec_b64 s[8:9], s[0:1]
	s_cbranch_execz .LBB0_14
; %bb.13:
	v_add_u32_e32 v9, 0x17a, v10
	v_mad_u64_u32 v[15:16], s[0:1], s20, v9, 0
	v_add_u32_e32 v13, 0x333, v10
	v_mad_u64_u32 v[20:21], s[0:1], s20, v13, 0
	v_mov_b32_e32 v6, v16
	s_waitcnt vmcnt(0)
	v_mad_u64_u32 v[16:17], s[0:1], s21, v9, v[6:7]
	v_mov_b32_e32 v6, v21
	v_mad_u64_u32 v[21:22], s[0:1], s21, v13, v[6:7]
	v_add_u32_e32 v9, 0x4ec, v10
	v_mad_u64_u32 v[22:23], s[0:1], s20, v9, 0
	v_lshlrev_b64 v[15:16], 2, v[15:16]
	v_add_co_u32_e64 v24, s[0:1], v0, v15
	v_mov_b32_e32 v6, v23
	v_addc_co_u32_e64 v25, s[0:1], v5, v16, s[0:1]
	v_lshlrev_b64 v[15:16], 2, v[20:21]
	v_mad_u64_u32 v[20:21], s[0:1], s21, v9, v[6:7]
	v_add_co_u32_e64 v26, s[0:1], v0, v15
	v_mov_b32_e32 v23, v20
	v_addc_co_u32_e64 v27, s[0:1], v5, v16, s[0:1]
	v_lshlrev_b64 v[15:16], 2, v[22:23]
	v_add_co_u32_e64 v20, s[0:1], v0, v15
	v_addc_co_u32_e64 v21, s[0:1], v5, v16, s[0:1]
	global_load_dword v16, v[24:25], off
	global_load_dword v15, v[26:27], off
	;; [unrolled: 1-line block ×3, first 2 shown]
.LBB0_14:
	s_or_b64 exec, exec, s[8:9]
	v_mov_b32_e32 v9, v10
.LBB0_15:
	s_or_b64 exec, exec, s[6:7]
	s_waitcnt vmcnt(1)
	v_pk_add_f16 v0, v15, v16
	s_waitcnt vmcnt(0)
	v_pk_add_f16 v13, v17, v0
	v_pk_add_f16 v0, v17, v15
	v_pk_add_f16 v5, v15, v17 neg_lo:[0,1] neg_hi:[0,1]
	s_movk_i32 s0, 0x3aee
	v_pk_fma_f16 v0, v0, 0.5, v16 op_sel_hi:[1,0,1] neg_lo:[1,0,0] neg_hi:[1,0,0]
	v_pk_mul_f16 v5, v5, s0 op_sel_hi:[1,0]
	v_pk_add_f16 v6, v18, v19
	v_pk_add_f16 v15, v5, v0 op_sel:[1,0] op_sel_hi:[0,1]
	v_pk_add_f16 v16, v0, v5 op_sel:[0,1] op_sel_hi:[1,0] neg_lo:[0,1] neg_hi:[0,1]
	v_pk_add_f16 v5, v12, v18
	v_pk_fma_f16 v6, v6, 0.5, v12 op_sel_hi:[1,0,1] neg_lo:[1,0,0] neg_hi:[1,0,0]
	v_pk_add_f16 v12, v18, v19 neg_lo:[0,1] neg_hi:[0,1]
	v_pk_mul_f16 v12, v12, s0 op_sel_hi:[1,0]
	v_pk_add_f16 v18, v6, v12 op_sel:[0,1] op_sel_hi:[1,0] neg_lo:[0,1] neg_hi:[0,1]
	v_pk_add_f16 v6, v6, v12 op_sel:[0,1] op_sel_hi:[1,0]
	s_mov_b32 s8, 0xffff
	v_mad_u32_u24 v0, v10, 12, 0
	v_pk_add_f16 v5, v5, v19
	v_bfi_b32 v12, s8, v18, v6
	ds_write2_b32 v0, v5, v12 offset1:1
	v_bfi_b32 v5, s8, v6, v18
	ds_write_b32 v0, v5 offset:8
	v_pk_add_f16 v5, v8, v14
	v_pk_add_f16 v5, v7, v5
	;; [unrolled: 1-line block ×3, first 2 shown]
	v_pk_add_f16 v7, v14, v7 neg_lo:[0,1] neg_hi:[0,1]
	v_pk_fma_f16 v6, v6, 0.5, v8 op_sel_hi:[1,0,1] neg_lo:[1,0,0] neg_hi:[1,0,0]
	v_pk_mul_f16 v7, v7, s0 op_sel_hi:[1,0]
	v_pk_add_f16 v8, v6, v7 op_sel:[0,1] op_sel_hi:[1,0] neg_lo:[0,1] neg_hi:[0,1]
	v_pk_add_f16 v6, v6, v7 op_sel:[0,1] op_sel_hi:[1,0]
	v_mad_i32_i24 v12, v11, 12, 0
	v_bfi_b32 v7, s8, v8, v6
	v_lshrrev_b32_e32 v17, 16, v16
	ds_write2_b32 v12, v5, v7 offset1:1
	v_bfi_b32 v5, s8, v6, v8
	v_cmp_gt_u32_e64 s[0:1], 63, v10
	ds_write_b32 v12, v5 offset:8
	s_and_saveexec_b64 s[6:7], s[0:1]
	s_cbranch_execz .LBB0_17
; %bb.16:
	v_bfi_b32 v5, s8, v16, v15
	v_add_u32_e32 v6, 0x11b8, v0
	s_mov_b32 s8, 0x5040100
	ds_write2_b32 v6, v13, v5 offset1:1
	v_perm_b32 v5, v17, v15, s8
	ds_write_b32 v0, v5 offset:4544
.LBB0_17:
	s_or_b64 exec, exec, s[6:7]
	v_lshlrev_b32_e32 v14, 3, v10
	v_sub_u32_e32 v19, v0, v14
	v_add_u32_e32 v5, 0x600, v19
	v_add_u32_e32 v7, 0xd00, v19
	v_lshlrev_b32_e32 v18, 3, v11
	s_waitcnt lgkmcnt(0)
	s_barrier
	ds_read2_b32 v[5:6], v5 offset0:57 offset1:246
	ds_read2_b32 v[7:8], v7 offset0:50 offset1:239
	v_sub_u32_e32 v22, v12, v18
	ds_read_b32 v21, v19
	ds_read_u16 v20, v19 offset:2
	ds_read_b32 v19, v22
	v_sub_u32_e32 v14, 0, v14
	v_lshrrev_b32_e32 v22, 16, v15
	v_add_u32_e32 v0, v0, v14
	s_and_saveexec_b64 s[6:7], s[0:1]
	s_cbranch_execz .LBB0_19
; %bb.18:
	ds_read_b32 v16, v0 offset:3276
	ds_read_b32 v15, v0 offset:5040
	;; [unrolled: 1-line block ×3, first 2 shown]
	s_waitcnt lgkmcnt(2)
	v_lshrrev_b32_e32 v22, 16, v16
	s_waitcnt lgkmcnt(1)
	v_lshrrev_b32_e32 v17, 16, v15
.LBB0_19:
	s_or_b64 exec, exec, s[6:7]
	s_movk_i32 s6, 0xab
	v_mul_lo_u16_sdwa v14, v10, s6 dst_sel:DWORD dst_unused:UNUSED_PAD src0_sel:BYTE_0 src1_sel:DWORD
	v_lshrrev_b16_e32 v31, 9, v14
	v_mul_lo_u16_e32 v14, 3, v31
	v_sub_u16_e32 v32, v10, v14
	v_mov_b32_e32 v14, 3
	s_mov_b32 s6, 0xaaab
	v_lshlrev_b32_sdwa v23, v14, v32 dst_sel:DWORD dst_unused:UNUSED_PAD src0_sel:DWORD src1_sel:BYTE_0
	v_mul_u32_u24_sdwa v14, v11, s6 dst_sel:DWORD dst_unused:UNUSED_PAD src0_sel:WORD_0 src1_sel:DWORD
	v_lshrrev_b32_e32 v33, 17, v14
	v_mul_lo_u16_e32 v14, 3, v33
	v_sub_u16_e32 v34, v11, v14
	v_add_u32_e32 v14, 0x17a, v10
	v_lshlrev_b32_e32 v24, 3, v34
	global_load_dwordx2 v[25:26], v23, s[12:13]
	global_load_dwordx2 v[27:28], v24, s[12:13]
	v_mul_u32_u24_sdwa v23, v14, s6 dst_sel:DWORD dst_unused:UNUSED_PAD src0_sel:WORD_0 src1_sel:DWORD
	v_lshrrev_b32_e32 v23, 17, v23
	v_mul_lo_u16_e32 v24, 3, v23
	v_sub_u16_e32 v24, v14, v24
	v_lshlrev_b32_e32 v29, 3, v24
	global_load_dwordx2 v[29:30], v29, s[12:13]
	v_mov_b32_e32 v39, 2
	s_waitcnt lgkmcnt(4)
	v_lshrrev_b32_e32 v35, 16, v5
	s_waitcnt lgkmcnt(3)
	v_lshrrev_b32_e32 v36, 16, v7
	v_mul_u32_u24_e32 v31, 36, v31
	v_lshlrev_b32_sdwa v32, v39, v32 dst_sel:DWORD dst_unused:UNUSED_PAD src0_sel:DWORD src1_sel:BYTE_0
	v_lshrrev_b32_e32 v37, 16, v6
	v_lshrrev_b32_e32 v38, 16, v8
	v_add3_u32 v31, 0, v31, v32
	s_waitcnt lgkmcnt(0)
	v_lshrrev_b32_e32 v40, 16, v19
	s_mov_b32 s6, 0xbaee
	s_movk_i32 s7, 0x3aee
	s_waitcnt vmcnt(0)
	s_barrier
	v_mul_f16_sdwa v32, v25, v5 dst_sel:DWORD dst_unused:UNUSED_PAD src0_sel:WORD_1 src1_sel:DWORD
	v_mul_f16_sdwa v39, v25, v35 dst_sel:DWORD dst_unused:UNUSED_PAD src0_sel:WORD_1 src1_sel:DWORD
	;; [unrolled: 1-line block ×8, first 2 shown]
	v_mul_f16_sdwa v47, v22, v29 dst_sel:DWORD dst_unused:UNUSED_PAD src0_sel:DWORD src1_sel:WORD_1
	v_mul_f16_sdwa v48, v16, v29 dst_sel:DWORD dst_unused:UNUSED_PAD src0_sel:DWORD src1_sel:WORD_1
	;; [unrolled: 1-line block ×4, first 2 shown]
	v_fma_f16 v32, v25, v35, -v32
	v_fma_f16 v35, v26, v36, -v41
	v_fma_f16 v5, v25, v5, v39
	v_fma_f16 v7, v26, v7, v42
	;; [unrolled: 1-line block ×4, first 2 shown]
	v_fma_f16 v25, v27, v37, -v44
	v_fma_f16 v26, v28, v38, -v46
	v_fma_f16 v27, v16, v29, v47
	v_fma_f16 v22, v22, v29, -v48
	v_fma_f16 v28, v15, v30, v49
	v_fma_f16 v15, v17, v30, -v50
	v_add_f16_e32 v16, v5, v21
	v_add_f16_e32 v17, v5, v7
	v_sub_f16_e32 v29, v32, v35
	v_add_f16_e32 v30, v20, v32
	v_add_f16_e32 v32, v32, v35
	v_sub_f16_e32 v5, v5, v7
	v_sub_f16_e32 v38, v25, v26
	v_add_f16_e32 v39, v40, v25
	v_add_f16_e32 v25, v25, v26
	;; [unrolled: 1-line block ×3, first 2 shown]
	v_fma_f16 v16, v17, -0.5, v21
	v_add_f16_e32 v17, v30, v35
	v_fma_f16 v20, v32, -0.5, v20
	v_fma_f16 v21, v25, -0.5, v40
	v_pack_b32_f16 v7, v7, v17
	v_fma_f16 v17, v29, s6, v16
	v_fma_f16 v25, v5, s7, v20
	;; [unrolled: 1-line block ×4, first 2 shown]
	v_pack_b32_f16 v17, v17, v25
	v_pack_b32_f16 v5, v16, v5
	v_add_f16_e32 v37, v6, v8
	ds_write2_b32 v31, v7, v17 offset1:3
	ds_write_b32 v31, v5 offset:24
	v_add_f16_e32 v5, v27, v28
	v_add_f16_e32 v36, v19, v6
	v_fma_f16 v19, v37, -0.5, v19
	v_fma_f16 v5, v5, -0.5, v13
	v_sub_f16_e32 v7, v22, v15
	v_fma_f16 v29, v38, s6, v19
	v_fma_f16 v30, v38, s7, v19
	v_fma_f16 v17, v7, s6, v5
	v_fma_f16 v19, v7, s7, v5
	v_lshrrev_b32_e32 v5, 16, v13
	v_add_f16_e32 v7, v5, v22
	v_add_f16_e32 v16, v7, v15
	v_add_f16_e32 v7, v22, v15
	v_fma_f16 v5, v7, -0.5, v5
	v_add_f16_e32 v7, v13, v27
	v_sub_f16_e32 v6, v6, v8
	v_add_f16_e32 v15, v7, v28
	v_sub_f16_e32 v7, v27, v28
	v_add_f16_e32 v8, v36, v8
	v_add_f16_e32 v26, v39, v26
	v_fma_f16 v32, v6, s7, v21
	v_fma_f16 v6, v6, s6, v21
	;; [unrolled: 1-line block ×4, first 2 shown]
	v_mul_u32_u24_e32 v5, 36, v33
	v_lshlrev_b32_e32 v7, 2, v34
	v_sub_u32_e32 v13, 0, v18
	v_add3_u32 v5, 0, v5, v7
	v_pack_b32_f16 v7, v8, v26
	v_pack_b32_f16 v8, v29, v32
	;; [unrolled: 1-line block ×3, first 2 shown]
	ds_write2_b32 v5, v7, v8 offset1:3
	ds_write_b32 v5, v6 offset:24
	s_and_saveexec_b64 s[6:7], s[0:1]
	s_cbranch_execz .LBB0_21
; %bb.20:
	v_mul_lo_u16_e32 v5, 9, v23
	v_lshlrev_b32_e32 v6, 2, v24
	v_lshlrev_b32_e32 v5, 2, v5
	s_mov_b32 s8, 0x5040100
	v_add3_u32 v5, 0, v6, v5
	v_perm_b32 v6, v16, v15, s8
	v_perm_b32 v7, v20, v17, s8
	ds_write2_b32 v5, v6, v7 offset1:3
	v_perm_b32 v6, v21, v19, s8
	ds_write_b32 v5, v6 offset:24
.LBB0_21:
	s_or_b64 exec, exec, s[6:7]
	v_add_u32_e32 v5, 0x600, v0
	v_add_u32_e32 v7, 0xd00, v0
	s_waitcnt lgkmcnt(0)
	s_barrier
	ds_read2_b32 v[5:6], v5 offset0:57 offset1:246
	ds_read2_b32 v[7:8], v7 offset0:50 offset1:239
	v_add_u32_e32 v13, v12, v13
	ds_read_b32 v22, v0
	ds_read_b32 v18, v13
	v_lshl_add_u32 v12, v10, 2, 0
	s_and_saveexec_b64 s[6:7], s[0:1]
	s_cbranch_execz .LBB0_23
; %bb.22:
	ds_read_b32 v15, v12 offset:1512
	ds_read_b32 v17, v0 offset:3276
	;; [unrolled: 1-line block ×3, first 2 shown]
	s_waitcnt lgkmcnt(2)
	v_lshrrev_b32_e32 v16, 16, v15
	s_waitcnt lgkmcnt(1)
	v_lshrrev_b32_e32 v20, 16, v17
	;; [unrolled: 2-line block ×3, first 2 shown]
.LBB0_23:
	s_or_b64 exec, exec, s[6:7]
	v_mov_b32_e32 v23, 57
	v_mul_lo_u16_sdwa v23, v10, v23 dst_sel:DWORD dst_unused:UNUSED_PAD src0_sel:BYTE_0 src1_sel:DWORD
	s_mov_b32 s14, 0xe38f
	v_lshrrev_b16_e32 v27, 9, v23
	v_mul_u32_u24_sdwa v24, v11, s14 dst_sel:DWORD dst_unused:UNUSED_PAD src0_sel:WORD_0 src1_sel:DWORD
	v_mul_lo_u16_e32 v23, 9, v27
	v_lshrrev_b32_e32 v29, 19, v24
	v_sub_u16_e32 v28, v10, v23
	v_mov_b32_e32 v23, 3
	v_mul_lo_u16_e32 v25, 9, v29
	v_lshlrev_b32_sdwa v23, v23, v28 dst_sel:DWORD dst_unused:UNUSED_PAD src0_sel:DWORD src1_sel:BYTE_0
	v_sub_u16_e32 v30, v11, v25
	global_load_dwordx2 v[23:24], v23, s[12:13] offset:24
	v_lshlrev_b32_e32 v11, 3, v30
	global_load_dwordx2 v[25:26], v11, s[12:13] offset:24
	v_mov_b32_e32 v11, 2
	s_waitcnt lgkmcnt(3)
	v_lshrrev_b32_e32 v32, 16, v5
	s_waitcnt lgkmcnt(2)
	v_lshrrev_b32_e32 v33, 16, v7
	v_mul_u32_u24_e32 v27, 0x6c, v27
	v_mul_u32_u24_e32 v29, 0x6c, v29
	v_lshlrev_b32_sdwa v28, v11, v28 dst_sel:DWORD dst_unused:UNUSED_PAD src0_sel:DWORD src1_sel:BYTE_0
	v_lshlrev_b32_e32 v30, 2, v30
	v_lshrrev_b32_e32 v34, 16, v6
	v_lshrrev_b32_e32 v35, 16, v8
	v_add3_u32 v27, 0, v27, v28
	v_add3_u32 v28, 0, v29, v30
	s_waitcnt lgkmcnt(1)
	v_lshrrev_b32_e32 v36, 16, v22
	s_waitcnt lgkmcnt(0)
	v_lshrrev_b32_e32 v31, 16, v18
	s_mov_b32 s8, 0xbaee
	s_movk_i32 s9, 0x3aee
	s_waitcnt vmcnt(0)
	s_barrier
	v_mul_f16_sdwa v29, v23, v32 dst_sel:DWORD dst_unused:UNUSED_PAD src0_sel:WORD_1 src1_sel:DWORD
	v_mul_f16_sdwa v30, v23, v5 dst_sel:DWORD dst_unused:UNUSED_PAD src0_sel:WORD_1 src1_sel:DWORD
	;; [unrolled: 1-line block ×8, first 2 shown]
	v_fma_f16 v5, v23, v5, v29
	v_fma_f16 v23, v23, v32, -v30
	v_fma_f16 v7, v24, v7, v37
	v_fma_f16 v24, v24, v33, -v38
	v_fma_f16 v6, v25, v6, v39
	v_fma_f16 v25, v25, v34, -v40
	v_fma_f16 v8, v26, v8, v41
	v_fma_f16 v26, v26, v35, -v42
	v_add_f16_e32 v30, v5, v7
	v_sub_f16_e32 v32, v23, v24
	v_add_f16_e32 v33, v23, v36
	v_add_f16_e32 v23, v23, v24
	;; [unrolled: 1-line block ×3, first 2 shown]
	v_sub_f16_e32 v5, v5, v7
	v_add_f16_e32 v35, v6, v8
	v_sub_f16_e32 v37, v25, v26
	v_add_f16_e32 v38, v31, v25
	v_add_f16_e32 v25, v25, v26
	v_fma_f16 v22, v30, -0.5, v22
	v_fma_f16 v23, v23, -0.5, v36
	v_add_f16_e32 v34, v18, v6
	v_sub_f16_e32 v6, v6, v8
	v_add_f16_e32 v7, v29, v7
	v_add_f16_e32 v24, v33, v24
	v_fma_f16 v18, v35, -0.5, v18
	v_fma_f16 v25, v25, -0.5, v31
	v_fma_f16 v29, v32, s8, v22
	v_fma_f16 v30, v5, s9, v23
	v_add_f16_e32 v8, v34, v8
	v_add_f16_e32 v26, v38, v26
	v_fma_f16 v22, v32, s9, v22
	v_fma_f16 v5, v5, s8, v23
	;; [unrolled: 1-line block ×6, first 2 shown]
	v_pack_b32_f16 v7, v7, v24
	v_pack_b32_f16 v24, v29, v30
	;; [unrolled: 1-line block ×6, first 2 shown]
	ds_write2_b32 v27, v7, v24 offset1:9
	ds_write_b32 v27, v5 offset:72
	ds_write2_b32 v28, v8, v22 offset1:9
	ds_write_b32 v28, v6 offset:72
	s_and_saveexec_b64 s[6:7], s[0:1]
	s_cbranch_execz .LBB0_25
; %bb.24:
	v_mul_u32_u24_sdwa v5, v14, s14 dst_sel:DWORD dst_unused:UNUSED_PAD src0_sel:WORD_0 src1_sel:DWORD
	v_lshrrev_b32_e32 v7, 19, v5
	v_mul_lo_u16_e32 v5, 9, v7
	v_sub_u16_e32 v8, v14, v5
	v_lshlrev_b32_e32 v5, 3, v8
	global_load_dwordx2 v[5:6], v5, s[12:13] offset:24
	v_mul_lo_u16_e32 v7, 27, v7
	v_lshlrev_b32_e32 v7, 2, v7
	v_lshlrev_b32_e32 v8, 2, v8
	v_add3_u32 v7, 0, v8, v7
	s_waitcnt vmcnt(0)
	v_mul_f16_sdwa v8, v17, v5 dst_sel:DWORD dst_unused:UNUSED_PAD src0_sel:DWORD src1_sel:WORD_1
	v_mul_f16_sdwa v14, v19, v6 dst_sel:DWORD dst_unused:UNUSED_PAD src0_sel:DWORD src1_sel:WORD_1
	;; [unrolled: 1-line block ×4, first 2 shown]
	v_fma_f16 v8, v20, v5, -v8
	v_fma_f16 v14, v21, v6, -v14
	v_fma_f16 v5, v17, v5, v18
	v_fma_f16 v6, v19, v6, v22
	v_add_f16_e32 v17, v8, v14
	v_add_f16_e32 v20, v5, v6
	v_sub_f16_e32 v18, v5, v6
	v_add_f16_e32 v19, v16, v8
	v_sub_f16_e32 v8, v8, v14
	v_add_f16_e32 v5, v15, v5
	v_fma_f16 v16, v17, -0.5, v16
	v_fma_f16 v15, v20, -0.5, v15
	v_add_f16_e32 v14, v19, v14
	v_add_f16_e32 v5, v5, v6
	v_fma_f16 v6, v18, s8, v16
	v_fma_f16 v16, v18, s9, v16
	;; [unrolled: 1-line block ×4, first 2 shown]
	v_pack_b32_f16 v5, v5, v14
	v_pack_b32_f16 v8, v8, v16
	;; [unrolled: 1-line block ×3, first 2 shown]
	ds_write2_b32 v7, v5, v8 offset1:9
	ds_write_b32 v7, v6 offset:72
.LBB0_25:
	s_or_b64 exec, exec, s[6:7]
	v_mov_b32_e32 v5, 19
	v_mul_lo_u16_sdwa v5, v10, v5 dst_sel:DWORD dst_unused:UNUSED_PAD src0_sel:BYTE_0 src1_sel:DWORD
	v_lshrrev_b16_e32 v22, 9, v5
	v_mul_lo_u16_e32 v5, 27, v22
	v_sub_u16_e32 v23, v10, v5
	v_mov_b32_e32 v5, 6
	v_mul_u32_u24_sdwa v5, v23, v5 dst_sel:DWORD dst_unused:UNUSED_PAD src0_sel:BYTE_0 src1_sel:DWORD
	v_lshlrev_b32_e32 v5, 2, v5
	s_waitcnt lgkmcnt(0)
	s_barrier
	global_load_dwordx4 v[14:17], v5, s[12:13] offset:96
	global_load_dwordx2 v[7:8], v5, s[12:13] offset:112
	v_add_u32_e32 v5, 0x800, v0
	v_add_u32_e32 v6, 0xe00, v0
	ds_read_b32 v24, v13
	ds_read_b32 v25, v0
	ds_read_b32 v26, v12 offset:1512
	ds_read2_b32 v[18:19], v5 offset0:55 offset1:244
	ds_read2_b32 v[20:21], v6 offset0:49 offset1:238
	s_waitcnt lgkmcnt(4)
	v_lshrrev_b32_e32 v27, 16, v24
	s_movk_i32 s6, 0x2b26
	s_waitcnt lgkmcnt(2)
	v_lshrrev_b32_e32 v28, 16, v26
	s_waitcnt lgkmcnt(1)
	v_lshrrev_b32_e32 v29, 16, v18
	v_lshrrev_b32_e32 v30, 16, v19
	s_waitcnt lgkmcnt(0)
	v_lshrrev_b32_e32 v31, 16, v20
	v_lshrrev_b32_e32 v32, 16, v21
	s_mov_b32 s0, 0xbb00
	s_mov_b32 s14, 0xbcab
	s_mov_b32 s7, 0xb9e0
	s_mov_b32 s15, 0xb574
	s_movk_i32 s9, 0x3574
	s_mov_b32 s8, 0xb70e
	v_lshlrev_b32_sdwa v11, v11, v23 dst_sel:DWORD dst_unused:UNUSED_PAD src0_sel:DWORD src1_sel:BYTE_0
	s_movk_i32 s1, 0x3a52
	s_waitcnt vmcnt(0)
	s_barrier
	v_mul_f16_sdwa v33, v14, v27 dst_sel:DWORD dst_unused:UNUSED_PAD src0_sel:WORD_1 src1_sel:DWORD
	v_mul_f16_sdwa v34, v14, v24 dst_sel:DWORD dst_unused:UNUSED_PAD src0_sel:WORD_1 src1_sel:DWORD
	;; [unrolled: 1-line block ×12, first 2 shown]
	v_fma_f16 v24, v14, v24, v33
	v_fma_f16 v14, v14, v27, -v34
	v_fma_f16 v26, v15, v26, v35
	v_fma_f16 v15, v15, v28, -v36
	;; [unrolled: 2-line block ×6, first 2 shown]
	v_add_f16_e32 v27, v24, v21
	v_add_f16_e32 v28, v14, v8
	v_sub_f16_e32 v21, v24, v21
	v_sub_f16_e32 v8, v14, v8
	v_add_f16_e32 v14, v26, v20
	v_add_f16_e32 v24, v15, v7
	v_sub_f16_e32 v20, v26, v20
	v_sub_f16_e32 v7, v15, v7
	;; [unrolled: 4-line block ×4, first 2 shown]
	v_sub_f16_e32 v27, v27, v15
	v_sub_f16_e32 v28, v28, v26
	v_add_f16_e32 v31, v18, v20
	v_sub_f16_e32 v14, v15, v14
	v_sub_f16_e32 v24, v26, v24
	v_add_f16_e32 v32, v16, v7
	v_sub_f16_e32 v33, v18, v20
	v_sub_f16_e32 v34, v16, v7
	;; [unrolled: 1-line block ×5, first 2 shown]
	v_add_f16_e32 v15, v15, v17
	v_add_f16_e32 v17, v26, v19
	;; [unrolled: 1-line block ×3, first 2 shown]
	v_mul_f16_e32 v21, 0x3a52, v27
	v_mul_f16_e32 v26, 0x3a52, v28
	v_sub_f16_e32 v16, v8, v16
	v_add_f16_e32 v8, v32, v8
	v_mul_f16_e32 v27, 0x2b26, v14
	v_mul_f16_e32 v28, 0x2b26, v24
	;; [unrolled: 1-line block ×4, first 2 shown]
	v_add_f16_e32 v33, v15, v25
	v_add_f16_sdwa v25, v17, v25 dst_sel:DWORD dst_unused:UNUSED_PAD src0_sel:DWORD src1_sel:WORD_1
	v_mul_f16_e32 v34, 0xbb00, v20
	v_mul_f16_e32 v35, 0xbb00, v7
	v_fma_f16 v14, v14, s6, v21
	v_fma_f16 v24, v24, s6, v26
	s_movk_i32 s6, 0x39e0
	v_fma_f16 v15, v15, s14, v33
	v_fma_f16 v17, v17, s14, v25
	v_fma_f16 v27, v29, s6, -v27
	v_fma_f16 v28, v30, s6, -v28
	;; [unrolled: 1-line block ×4, first 2 shown]
	v_fma_f16 v29, v18, s15, v31
	v_fma_f16 v30, v16, s15, v32
	v_fma_f16 v20, v20, s0, -v31
	v_fma_f16 v7, v7, s0, -v32
	;; [unrolled: 1-line block ×4, first 2 shown]
	v_add_f16_e32 v14, v14, v15
	v_add_f16_e32 v24, v24, v17
	;; [unrolled: 1-line block ×6, first 2 shown]
	v_fma_f16 v21, v19, s8, v29
	v_fma_f16 v26, v8, s8, v30
	;; [unrolled: 1-line block ×6, first 2 shown]
	v_add_f16_e32 v16, v26, v14
	v_sub_f16_e32 v19, v24, v21
	v_add_f16_e32 v29, v8, v15
	v_sub_f16_e32 v30, v17, v18
	v_sub_f16_e32 v31, v27, v7
	v_add_f16_e32 v32, v20, v28
	v_add_f16_e32 v7, v7, v27
	v_sub_f16_e32 v20, v28, v20
	v_sub_f16_e32 v8, v15, v8
	v_add_f16_e32 v15, v18, v17
	v_mul_u32_u24_e32 v18, 0x2f4, v22
	v_sub_f16_e32 v14, v14, v26
	v_add_f16_e32 v17, v21, v24
	v_add3_u32 v11, 0, v18, v11
	v_pack_b32_f16 v18, v33, v25
	v_pack_b32_f16 v16, v16, v19
	;; [unrolled: 1-line block ×4, first 2 shown]
	ds_write2_b32 v11, v18, v16 offset1:27
	v_pack_b32_f16 v16, v29, v30
	v_pack_b32_f16 v18, v31, v32
	ds_write2_b32 v11, v7, v8 offset0:108 offset1:135
	v_pack_b32_f16 v7, v14, v17
	ds_write2_b32 v11, v16, v18 offset0:54 offset1:81
	ds_write_b32 v11, v7 offset:648
	s_waitcnt lgkmcnt(0)
	s_barrier
	s_and_saveexec_b64 s[16:17], vcc
	s_cbranch_execz .LBB0_27
; %bb.26:
	v_mul_u32_u24_e32 v7, 6, v10
	v_lshlrev_b32_e32 v10, 2, v7
	global_load_dwordx4 v[14:17], v10, s[12:13] offset:744
	global_load_dwordx2 v[7:8], v10, s[12:13] offset:760
	v_mul_lo_u32 v18, s5, v3
	v_mul_lo_u32 v19, s4, v4
	v_mad_u64_u32 v[3:4], s[4:5], s4, v3, 0
	ds_read_b32 v13, v13
	ds_read2_b32 v[10:11], v6 offset0:49 offset1:238
	ds_read2_b32 v[5:6], v5 offset0:55 offset1:244
	ds_read_b32 v12, v12 offset:1512
	ds_read_b32 v0, v0
	v_add3_u32 v4, v4, v19, v18
	s_waitcnt lgkmcnt(4)
	v_lshrrev_b32_e32 v18, 16, v13
	s_waitcnt lgkmcnt(3)
	v_lshrrev_b32_e32 v19, 16, v11
	s_waitcnt lgkmcnt(2)
	v_lshrrev_b32_e32 v20, 16, v6
	v_lshrrev_b32_e32 v21, 16, v5
	s_waitcnt lgkmcnt(1)
	v_lshrrev_b32_e32 v22, 16, v12
	v_lshrrev_b32_e32 v23, 16, v10
	v_lshlrev_b64 v[3:4], 2, v[3:4]
	v_add_co_u32_e32 v3, vcc, s10, v3
	s_waitcnt vmcnt(1)
	v_mul_f16_sdwa v24, v14, v18 dst_sel:DWORD dst_unused:UNUSED_PAD src0_sel:WORD_1 src1_sel:DWORD
	s_waitcnt vmcnt(0)
	v_mul_f16_sdwa v25, v8, v19 dst_sel:DWORD dst_unused:UNUSED_PAD src0_sel:WORD_1 src1_sel:DWORD
	v_mul_f16_sdwa v26, v17, v20 dst_sel:DWORD dst_unused:UNUSED_PAD src0_sel:WORD_1 src1_sel:DWORD
	;; [unrolled: 1-line block ×11, first 2 shown]
	v_fma_f16 v13, v14, v13, v24
	v_fma_f16 v11, v8, v11, v25
	;; [unrolled: 1-line block ×6, first 2 shown]
	v_fma_f16 v8, v8, v19, -v30
	v_fma_f16 v14, v14, v18, -v31
	;; [unrolled: 1-line block ×6, first 2 shown]
	v_sub_f16_e32 v18, v13, v11
	v_sub_f16_e32 v19, v6, v5
	;; [unrolled: 1-line block ×3, first 2 shown]
	v_add_f16_e32 v21, v14, v8
	v_add_f16_e32 v23, v15, v7
	;; [unrolled: 1-line block ×5, first 2 shown]
	v_sub_f16_e32 v10, v17, v16
	v_sub_f16_e32 v7, v15, v7
	v_add_f16_e32 v22, v17, v16
	v_sub_f16_e32 v8, v14, v8
	v_add_f16_e32 v17, v21, v23
	v_add_f16_e32 v25, v11, v6
	v_sub_f16_e32 v27, v10, v7
	v_sub_f16_e32 v12, v18, v19
	;; [unrolled: 1-line block ×3, first 2 shown]
	v_add_f16_e32 v14, v19, v20
	v_sub_f16_e32 v19, v11, v5
	v_sub_f16_e32 v24, v5, v6
	;; [unrolled: 1-line block ×3, first 2 shown]
	v_add_f16_e32 v10, v10, v7
	v_add_f16_e32 v17, v22, v17
	;; [unrolled: 1-line block ×3, first 2 shown]
	v_mul_f16_e32 v25, 0x3846, v27
	v_add_f16_e32 v10, v8, v10
	s_waitcnt lgkmcnt(0)
	v_add_f16_sdwa v29, v17, v0 dst_sel:DWORD dst_unused:UNUSED_PAD src0_sel:DWORD src1_sel:WORD_1
	v_add_f16_e32 v30, v5, v0
	v_fma_f16 v0, v26, s15, v25
	v_fma_f16 v31, v10, s8, v0
	v_sub_f16_e32 v0, v20, v18
	v_sub_f16_e32 v15, v21, v22
	v_sub_f16_e32 v16, v22, v23
	v_mul_f16_e32 v13, 0x3846, v13
	v_add_f16_e32 v14, v18, v14
	v_mul_f16_e32 v22, 0x3a52, v19
	v_mul_f16_e32 v24, 0x2b26, v24
	;; [unrolled: 1-line block ×3, first 2 shown]
	v_sub_f16_e32 v6, v6, v11
	v_fma_f16 v27, v12, s15, v13
	v_fma_f16 v19, v19, s1, v24
	;; [unrolled: 1-line block ×3, first 2 shown]
	v_fma_f16 v12, v12, s9, -v18
	v_fma_f16 v11, v6, s7, -v22
	v_sub_f16_e32 v7, v7, v8
	v_fma_f16 v0, v0, s0, -v13
	v_fma_f16 v6, v6, s6, -v24
	v_mul_f16_e32 v16, 0x2b26, v16
	v_fma_f16 v27, v14, s8, v27
	v_add_f16_e32 v19, v19, v5
	v_fma_f16 v12, v14, s8, v12
	v_add_f16_e32 v11, v11, v5
	;; [unrolled: 2-line block ×3, first 2 shown]
	v_fma_f16 v5, v7, s0, -v25
	v_mul_f16_e32 v28, 0x3a52, v15
	v_fma_f16 v15, v15, s1, v16
	v_mul_f16_e32 v8, 0xbb00, v7
	v_fma_f16 v7, v10, s8, v5
	v_mad_u64_u32 v[5:6], s[0:1], s2, v9, 0
	v_sub_f16_e32 v18, v23, v21
	v_fma_f16 v17, v17, s14, v29
	v_fma_f16 v16, v18, s6, -v16
	v_add_f16_e32 v16, v16, v17
	v_fma_f16 v8, v26, s9, -v8
	v_sub_f16_e32 v13, v16, v0
	v_add_f16_e32 v16, v0, v16
	v_mov_b32_e32 v0, v6
	v_fma_f16 v8, v10, s8, v8
	v_add_f16_e32 v10, v7, v14
	v_sub_f16_e32 v14, v14, v7
	v_mad_u64_u32 v[6:7], s[0:1], s3, v9, v[0:1]
	v_mov_b32_e32 v0, s11
	v_addc_co_u32_e32 v4, vcc, v0, v4, vcc
	v_lshlrev_b64 v[0:1], 2, v[1:2]
	v_add_f16_e32 v15, v15, v17
	v_add_f16_e32 v32, v27, v15
	v_fma_f16 v20, v18, s7, -v28
	v_sub_f16_e32 v22, v11, v8
	v_add_f16_e32 v7, v8, v11
	v_sub_f16_e32 v8, v15, v27
	v_add_co_u32_e32 v15, vcc, v3, v0
	v_add_f16_e32 v20, v20, v17
	v_addc_co_u32_e32 v17, vcc, v4, v1, vcc
	v_add_u32_e32 v4, 0xbd, v9
	v_mad_u64_u32 v[2:3], s[0:1], s2, v4, 0
	v_add_u32_e32 v18, 0x17a, v9
	v_lshlrev_b64 v[0:1], 2, v[5:6]
	v_mad_u64_u32 v[3:4], s[0:1], s3, v4, v[3:4]
	v_mad_u64_u32 v[4:5], s[0:1], s2, v18, 0
	v_add_co_u32_e32 v0, vcc, v15, v0
	v_addc_co_u32_e32 v1, vcc, v17, v1, vcc
	v_pack_b32_f16 v6, v30, v29
	global_store_dword v[0:1], v6, off
	v_lshlrev_b64 v[0:1], 2, v[2:3]
	v_mov_b32_e32 v2, v5
	v_mad_u64_u32 v[2:3], s[0:1], s3, v18, v[2:3]
	v_add_f16_e32 v11, v31, v19
	v_add_co_u32_e32 v0, vcc, v15, v0
	v_addc_co_u32_e32 v1, vcc, v17, v1, vcc
	v_pack_b32_f16 v3, v11, v8
	v_mov_b32_e32 v5, v2
	global_store_dword v[0:1], v3, off
	v_lshlrev_b64 v[0:1], 2, v[4:5]
	v_add_u32_e32 v4, 0x237, v9
	v_mad_u64_u32 v[2:3], s[0:1], s2, v4, 0
	v_add_f16_e32 v21, v12, v20
	v_sub_f16_e32 v12, v20, v12
	v_pack_b32_f16 v6, v7, v12
	v_mad_u64_u32 v[3:4], s[0:1], s3, v4, v[3:4]
	v_add_u32_e32 v7, 0x2f4, v9
	v_mad_u64_u32 v[4:5], s[0:1], s2, v7, 0
	v_add_co_u32_e32 v0, vcc, v15, v0
	v_addc_co_u32_e32 v1, vcc, v17, v1, vcc
	global_store_dword v[0:1], v6, off
	v_lshlrev_b64 v[0:1], 2, v[2:3]
	v_mov_b32_e32 v2, v5
	v_mad_u64_u32 v[2:3], s[0:1], s3, v7, v[2:3]
	v_add_co_u32_e32 v0, vcc, v15, v0
	v_addc_co_u32_e32 v1, vcc, v17, v1, vcc
	v_pack_b32_f16 v3, v14, v16
	v_mov_b32_e32 v5, v2
	global_store_dword v[0:1], v3, off
	v_lshlrev_b64 v[0:1], 2, v[4:5]
	v_add_u32_e32 v4, 0x3b1, v9
	v_mad_u64_u32 v[2:3], s[0:1], s2, v4, 0
	v_add_u32_e32 v7, 0x46e, v9
	v_add_co_u32_e32 v0, vcc, v15, v0
	v_mad_u64_u32 v[3:4], s[0:1], s3, v4, v[3:4]
	v_mad_u64_u32 v[4:5], s[0:1], s2, v7, 0
	v_addc_co_u32_e32 v1, vcc, v17, v1, vcc
	v_pack_b32_f16 v6, v10, v13
	global_store_dword v[0:1], v6, off
	v_lshlrev_b64 v[0:1], 2, v[2:3]
	v_mov_b32_e32 v2, v5
	v_mad_u64_u32 v[2:3], s[0:1], s3, v7, v[2:3]
	v_add_co_u32_e32 v0, vcc, v15, v0
	v_addc_co_u32_e32 v1, vcc, v17, v1, vcc
	v_pack_b32_f16 v3, v22, v21
	v_mov_b32_e32 v5, v2
	global_store_dword v[0:1], v3, off
	v_lshlrev_b64 v[0:1], 2, v[4:5]
	v_sub_f16_e32 v33, v19, v31
	v_add_co_u32_e32 v0, vcc, v15, v0
	v_addc_co_u32_e32 v1, vcc, v17, v1, vcc
	v_pack_b32_f16 v2, v33, v32
	global_store_dword v[0:1], v2, off
.LBB0_27:
	s_endpgm
	.section	.rodata,"a",@progbits
	.p2align	6, 0x0
	.amdhsa_kernel fft_rtc_back_len1323_factors_3_3_3_7_7_wgs_189_tpt_189_half_op_CI_CI_sbrr_dirReg
		.amdhsa_group_segment_fixed_size 0
		.amdhsa_private_segment_fixed_size 0
		.amdhsa_kernarg_size 104
		.amdhsa_user_sgpr_count 6
		.amdhsa_user_sgpr_private_segment_buffer 1
		.amdhsa_user_sgpr_dispatch_ptr 0
		.amdhsa_user_sgpr_queue_ptr 0
		.amdhsa_user_sgpr_kernarg_segment_ptr 1
		.amdhsa_user_sgpr_dispatch_id 0
		.amdhsa_user_sgpr_flat_scratch_init 0
		.amdhsa_user_sgpr_private_segment_size 0
		.amdhsa_uses_dynamic_stack 0
		.amdhsa_system_sgpr_private_segment_wavefront_offset 0
		.amdhsa_system_sgpr_workgroup_id_x 1
		.amdhsa_system_sgpr_workgroup_id_y 0
		.amdhsa_system_sgpr_workgroup_id_z 0
		.amdhsa_system_sgpr_workgroup_info 0
		.amdhsa_system_vgpr_workitem_id 0
		.amdhsa_next_free_vgpr 51
		.amdhsa_next_free_sgpr 32
		.amdhsa_reserve_vcc 1
		.amdhsa_reserve_flat_scratch 0
		.amdhsa_float_round_mode_32 0
		.amdhsa_float_round_mode_16_64 0
		.amdhsa_float_denorm_mode_32 3
		.amdhsa_float_denorm_mode_16_64 3
		.amdhsa_dx10_clamp 1
		.amdhsa_ieee_mode 1
		.amdhsa_fp16_overflow 0
		.amdhsa_exception_fp_ieee_invalid_op 0
		.amdhsa_exception_fp_denorm_src 0
		.amdhsa_exception_fp_ieee_div_zero 0
		.amdhsa_exception_fp_ieee_overflow 0
		.amdhsa_exception_fp_ieee_underflow 0
		.amdhsa_exception_fp_ieee_inexact 0
		.amdhsa_exception_int_div_zero 0
	.end_amdhsa_kernel
	.text
.Lfunc_end0:
	.size	fft_rtc_back_len1323_factors_3_3_3_7_7_wgs_189_tpt_189_half_op_CI_CI_sbrr_dirReg, .Lfunc_end0-fft_rtc_back_len1323_factors_3_3_3_7_7_wgs_189_tpt_189_half_op_CI_CI_sbrr_dirReg
                                        ; -- End function
	.section	.AMDGPU.csdata,"",@progbits
; Kernel info:
; codeLenInByte = 6400
; NumSgprs: 36
; NumVgprs: 51
; ScratchSize: 0
; MemoryBound: 0
; FloatMode: 240
; IeeeMode: 1
; LDSByteSize: 0 bytes/workgroup (compile time only)
; SGPRBlocks: 4
; VGPRBlocks: 12
; NumSGPRsForWavesPerEU: 36
; NumVGPRsForWavesPerEU: 51
; Occupancy: 4
; WaveLimiterHint : 1
; COMPUTE_PGM_RSRC2:SCRATCH_EN: 0
; COMPUTE_PGM_RSRC2:USER_SGPR: 6
; COMPUTE_PGM_RSRC2:TRAP_HANDLER: 0
; COMPUTE_PGM_RSRC2:TGID_X_EN: 1
; COMPUTE_PGM_RSRC2:TGID_Y_EN: 0
; COMPUTE_PGM_RSRC2:TGID_Z_EN: 0
; COMPUTE_PGM_RSRC2:TIDIG_COMP_CNT: 0
	.type	__hip_cuid_dcc061fc03a0a8c2,@object ; @__hip_cuid_dcc061fc03a0a8c2
	.section	.bss,"aw",@nobits
	.globl	__hip_cuid_dcc061fc03a0a8c2
__hip_cuid_dcc061fc03a0a8c2:
	.byte	0                               ; 0x0
	.size	__hip_cuid_dcc061fc03a0a8c2, 1

	.ident	"AMD clang version 19.0.0git (https://github.com/RadeonOpenCompute/llvm-project roc-6.4.0 25133 c7fe45cf4b819c5991fe208aaa96edf142730f1d)"
	.section	".note.GNU-stack","",@progbits
	.addrsig
	.addrsig_sym __hip_cuid_dcc061fc03a0a8c2
	.amdgpu_metadata
---
amdhsa.kernels:
  - .args:
      - .actual_access:  read_only
        .address_space:  global
        .offset:         0
        .size:           8
        .value_kind:     global_buffer
      - .offset:         8
        .size:           8
        .value_kind:     by_value
      - .actual_access:  read_only
        .address_space:  global
        .offset:         16
        .size:           8
        .value_kind:     global_buffer
      - .actual_access:  read_only
        .address_space:  global
        .offset:         24
        .size:           8
        .value_kind:     global_buffer
      - .actual_access:  read_only
        .address_space:  global
        .offset:         32
        .size:           8
        .value_kind:     global_buffer
      - .offset:         40
        .size:           8
        .value_kind:     by_value
      - .actual_access:  read_only
        .address_space:  global
        .offset:         48
        .size:           8
        .value_kind:     global_buffer
      - .actual_access:  read_only
        .address_space:  global
        .offset:         56
        .size:           8
        .value_kind:     global_buffer
      - .offset:         64
        .size:           4
        .value_kind:     by_value
      - .actual_access:  read_only
        .address_space:  global
        .offset:         72
        .size:           8
        .value_kind:     global_buffer
      - .actual_access:  read_only
        .address_space:  global
        .offset:         80
        .size:           8
        .value_kind:     global_buffer
      - .actual_access:  read_only
        .address_space:  global
        .offset:         88
        .size:           8
        .value_kind:     global_buffer
      - .actual_access:  write_only
        .address_space:  global
        .offset:         96
        .size:           8
        .value_kind:     global_buffer
    .group_segment_fixed_size: 0
    .kernarg_segment_align: 8
    .kernarg_segment_size: 104
    .language:       OpenCL C
    .language_version:
      - 2
      - 0
    .max_flat_workgroup_size: 189
    .name:           fft_rtc_back_len1323_factors_3_3_3_7_7_wgs_189_tpt_189_half_op_CI_CI_sbrr_dirReg
    .private_segment_fixed_size: 0
    .sgpr_count:     36
    .sgpr_spill_count: 0
    .symbol:         fft_rtc_back_len1323_factors_3_3_3_7_7_wgs_189_tpt_189_half_op_CI_CI_sbrr_dirReg.kd
    .uniform_work_group_size: 1
    .uses_dynamic_stack: false
    .vgpr_count:     51
    .vgpr_spill_count: 0
    .wavefront_size: 64
amdhsa.target:   amdgcn-amd-amdhsa--gfx906
amdhsa.version:
  - 1
  - 2
...

	.end_amdgpu_metadata
